;; amdgpu-corpus repo=ROCm/rocFFT kind=compiled arch=gfx1030 opt=O3
	.text
	.amdgcn_target "amdgcn-amd-amdhsa--gfx1030"
	.amdhsa_code_object_version 6
	.protected	fft_rtc_back_len220_factors_10_2_11_wgs_110_tpt_22_sp_ip_CI_unitstride_sbrr_C2R_dirReg ; -- Begin function fft_rtc_back_len220_factors_10_2_11_wgs_110_tpt_22_sp_ip_CI_unitstride_sbrr_C2R_dirReg
	.globl	fft_rtc_back_len220_factors_10_2_11_wgs_110_tpt_22_sp_ip_CI_unitstride_sbrr_C2R_dirReg
	.p2align	8
	.type	fft_rtc_back_len220_factors_10_2_11_wgs_110_tpt_22_sp_ip_CI_unitstride_sbrr_C2R_dirReg,@function
fft_rtc_back_len220_factors_10_2_11_wgs_110_tpt_22_sp_ip_CI_unitstride_sbrr_C2R_dirReg: ; @fft_rtc_back_len220_factors_10_2_11_wgs_110_tpt_22_sp_ip_CI_unitstride_sbrr_C2R_dirReg
; %bb.0:
	s_load_dwordx4 s[8:11], s[4:5], 0x0
	v_mul_u32_u24_e32 v1, 0xba3, v0
	s_clause 0x1
	s_load_dwordx2 s[2:3], s[4:5], 0x50
	s_load_dwordx2 s[12:13], s[4:5], 0x18
	v_mov_b32_e32 v5, 0
	v_mov_b32_e32 v3, 0
	;; [unrolled: 1-line block ×3, first 2 shown]
	v_lshrrev_b32_e32 v1, 16, v1
	v_mad_u64_u32 v[1:2], null, s6, 5, v[1:2]
	v_mov_b32_e32 v2, v5
	v_mov_b32_e32 v10, v2
	;; [unrolled: 1-line block ×3, first 2 shown]
	s_waitcnt lgkmcnt(0)
	v_cmp_lt_u64_e64 s0, s[10:11], 2
	s_and_b32 vcc_lo, exec_lo, s0
	s_cbranch_vccnz .LBB0_8
; %bb.1:
	s_load_dwordx2 s[0:1], s[4:5], 0x10
	v_mov_b32_e32 v3, 0
	v_mov_b32_e32 v8, v2
	s_add_u32 s6, s12, 8
	v_mov_b32_e32 v4, 0
	v_mov_b32_e32 v7, v1
	s_addc_u32 s7, s13, 0
	s_mov_b64 s[16:17], 1
	s_waitcnt lgkmcnt(0)
	s_add_u32 s14, s0, 8
	s_addc_u32 s15, s1, 0
.LBB0_2:                                ; =>This Inner Loop Header: Depth=1
	s_load_dwordx2 s[18:19], s[14:15], 0x0
                                        ; implicit-def: $vgpr9_vgpr10
	s_mov_b32 s0, exec_lo
	s_waitcnt lgkmcnt(0)
	v_or_b32_e32 v6, s19, v8
	v_cmpx_ne_u64_e32 0, v[5:6]
	s_xor_b32 s1, exec_lo, s0
	s_cbranch_execz .LBB0_4
; %bb.3:                                ;   in Loop: Header=BB0_2 Depth=1
	v_cvt_f32_u32_e32 v2, s18
	v_cvt_f32_u32_e32 v6, s19
	s_sub_u32 s0, 0, s18
	s_subb_u32 s20, 0, s19
	v_fmac_f32_e32 v2, 0x4f800000, v6
	v_rcp_f32_e32 v2, v2
	v_mul_f32_e32 v2, 0x5f7ffffc, v2
	v_mul_f32_e32 v6, 0x2f800000, v2
	v_trunc_f32_e32 v6, v6
	v_fmac_f32_e32 v2, 0xcf800000, v6
	v_cvt_u32_f32_e32 v6, v6
	v_cvt_u32_f32_e32 v2, v2
	v_mul_lo_u32 v9, s0, v6
	v_mul_hi_u32 v10, s0, v2
	v_mul_lo_u32 v11, s20, v2
	v_add_nc_u32_e32 v9, v10, v9
	v_mul_lo_u32 v10, s0, v2
	v_add_nc_u32_e32 v9, v9, v11
	v_mul_hi_u32 v11, v2, v10
	v_mul_lo_u32 v12, v2, v9
	v_mul_hi_u32 v13, v2, v9
	v_mul_hi_u32 v14, v6, v10
	v_mul_lo_u32 v10, v6, v10
	v_mul_hi_u32 v15, v6, v9
	v_mul_lo_u32 v9, v6, v9
	v_add_co_u32 v11, vcc_lo, v11, v12
	v_add_co_ci_u32_e32 v12, vcc_lo, 0, v13, vcc_lo
	v_add_co_u32 v10, vcc_lo, v11, v10
	v_add_co_ci_u32_e32 v10, vcc_lo, v12, v14, vcc_lo
	v_add_co_ci_u32_e32 v11, vcc_lo, 0, v15, vcc_lo
	v_add_co_u32 v9, vcc_lo, v10, v9
	v_add_co_ci_u32_e32 v10, vcc_lo, 0, v11, vcc_lo
	v_add_co_u32 v2, vcc_lo, v2, v9
	v_add_co_ci_u32_e32 v6, vcc_lo, v6, v10, vcc_lo
	v_mul_hi_u32 v9, s0, v2
	v_mul_lo_u32 v11, s20, v2
	v_mul_lo_u32 v10, s0, v6
	v_add_nc_u32_e32 v9, v9, v10
	v_mul_lo_u32 v10, s0, v2
	v_add_nc_u32_e32 v9, v9, v11
	v_mul_hi_u32 v11, v2, v10
	v_mul_lo_u32 v12, v2, v9
	v_mul_hi_u32 v13, v2, v9
	v_mul_hi_u32 v14, v6, v10
	v_mul_lo_u32 v10, v6, v10
	v_mul_hi_u32 v15, v6, v9
	v_mul_lo_u32 v9, v6, v9
	v_add_co_u32 v11, vcc_lo, v11, v12
	v_add_co_ci_u32_e32 v12, vcc_lo, 0, v13, vcc_lo
	v_add_co_u32 v10, vcc_lo, v11, v10
	v_add_co_ci_u32_e32 v10, vcc_lo, v12, v14, vcc_lo
	v_add_co_ci_u32_e32 v11, vcc_lo, 0, v15, vcc_lo
	v_add_co_u32 v9, vcc_lo, v10, v9
	v_add_co_ci_u32_e32 v10, vcc_lo, 0, v11, vcc_lo
	v_add_co_u32 v2, vcc_lo, v2, v9
	v_add_co_ci_u32_e32 v6, vcc_lo, v6, v10, vcc_lo
	v_mul_hi_u32 v15, v7, v2
	v_mad_u64_u32 v[11:12], null, v8, v2, 0
	v_mad_u64_u32 v[9:10], null, v7, v6, 0
	v_mad_u64_u32 v[13:14], null, v8, v6, 0
	v_add_co_u32 v2, vcc_lo, v15, v9
	v_add_co_ci_u32_e32 v6, vcc_lo, 0, v10, vcc_lo
	v_add_co_u32 v2, vcc_lo, v2, v11
	v_add_co_ci_u32_e32 v2, vcc_lo, v6, v12, vcc_lo
	v_add_co_ci_u32_e32 v6, vcc_lo, 0, v14, vcc_lo
	v_add_co_u32 v2, vcc_lo, v2, v13
	v_add_co_ci_u32_e32 v6, vcc_lo, 0, v6, vcc_lo
	v_mul_lo_u32 v11, s19, v2
	v_mad_u64_u32 v[9:10], null, s18, v2, 0
	v_mul_lo_u32 v12, s18, v6
	v_sub_co_u32 v9, vcc_lo, v7, v9
	v_add3_u32 v10, v10, v12, v11
	v_sub_nc_u32_e32 v11, v8, v10
	v_subrev_co_ci_u32_e64 v11, s0, s19, v11, vcc_lo
	v_add_co_u32 v12, s0, v2, 2
	v_add_co_ci_u32_e64 v13, s0, 0, v6, s0
	v_sub_co_u32 v14, s0, v9, s18
	v_sub_co_ci_u32_e32 v10, vcc_lo, v8, v10, vcc_lo
	v_subrev_co_ci_u32_e64 v11, s0, 0, v11, s0
	v_cmp_le_u32_e32 vcc_lo, s18, v14
	v_cmp_eq_u32_e64 s0, s19, v10
	v_cndmask_b32_e64 v14, 0, -1, vcc_lo
	v_cmp_le_u32_e32 vcc_lo, s19, v11
	v_cndmask_b32_e64 v15, 0, -1, vcc_lo
	v_cmp_le_u32_e32 vcc_lo, s18, v9
	;; [unrolled: 2-line block ×3, first 2 shown]
	v_cndmask_b32_e64 v16, 0, -1, vcc_lo
	v_cmp_eq_u32_e32 vcc_lo, s19, v11
	v_cndmask_b32_e64 v9, v16, v9, s0
	v_cndmask_b32_e32 v11, v15, v14, vcc_lo
	v_add_co_u32 v14, vcc_lo, v2, 1
	v_add_co_ci_u32_e32 v15, vcc_lo, 0, v6, vcc_lo
	v_cmp_ne_u32_e32 vcc_lo, 0, v11
	v_cndmask_b32_e32 v10, v15, v13, vcc_lo
	v_cndmask_b32_e32 v11, v14, v12, vcc_lo
	v_cmp_ne_u32_e32 vcc_lo, 0, v9
	v_cndmask_b32_e32 v10, v6, v10, vcc_lo
	v_cndmask_b32_e32 v9, v2, v11, vcc_lo
.LBB0_4:                                ;   in Loop: Header=BB0_2 Depth=1
	s_andn2_saveexec_b32 s0, s1
	s_cbranch_execz .LBB0_6
; %bb.5:                                ;   in Loop: Header=BB0_2 Depth=1
	v_cvt_f32_u32_e32 v2, s18
	s_sub_i32 s1, 0, s18
	v_rcp_iflag_f32_e32 v2, v2
	v_mul_f32_e32 v2, 0x4f7ffffe, v2
	v_cvt_u32_f32_e32 v2, v2
	v_mul_lo_u32 v6, s1, v2
	v_mul_hi_u32 v6, v2, v6
	v_add_nc_u32_e32 v2, v2, v6
	v_mul_hi_u32 v2, v7, v2
	v_mul_lo_u32 v6, v2, s18
	v_add_nc_u32_e32 v9, 1, v2
	v_sub_nc_u32_e32 v6, v7, v6
	v_subrev_nc_u32_e32 v10, s18, v6
	v_cmp_le_u32_e32 vcc_lo, s18, v6
	v_cndmask_b32_e32 v6, v6, v10, vcc_lo
	v_cndmask_b32_e32 v2, v2, v9, vcc_lo
	v_mov_b32_e32 v10, v5
	v_cmp_le_u32_e32 vcc_lo, s18, v6
	v_add_nc_u32_e32 v9, 1, v2
	v_cndmask_b32_e32 v9, v2, v9, vcc_lo
.LBB0_6:                                ;   in Loop: Header=BB0_2 Depth=1
	s_or_b32 exec_lo, exec_lo, s0
	s_load_dwordx2 s[0:1], s[6:7], 0x0
	v_mul_lo_u32 v2, v10, s18
	v_mul_lo_u32 v6, v9, s19
	v_mad_u64_u32 v[11:12], null, v9, s18, 0
	s_add_u32 s16, s16, 1
	s_addc_u32 s17, s17, 0
	s_add_u32 s6, s6, 8
	s_addc_u32 s7, s7, 0
	;; [unrolled: 2-line block ×3, first 2 shown]
	v_add3_u32 v2, v12, v6, v2
	v_sub_co_u32 v6, vcc_lo, v7, v11
	v_sub_co_ci_u32_e32 v2, vcc_lo, v8, v2, vcc_lo
	s_waitcnt lgkmcnt(0)
	v_mul_lo_u32 v7, s1, v6
	v_mul_lo_u32 v2, s0, v2
	v_mad_u64_u32 v[3:4], null, s0, v6, v[3:4]
	v_cmp_ge_u64_e64 s0, s[16:17], s[10:11]
	s_and_b32 vcc_lo, exec_lo, s0
	v_add3_u32 v4, v7, v4, v2
	s_cbranch_vccnz .LBB0_8
; %bb.7:                                ;   in Loop: Header=BB0_2 Depth=1
	v_mov_b32_e32 v7, v9
	v_mov_b32_e32 v8, v10
	s_branch .LBB0_2
.LBB0_8:
	s_lshl_b64 s[0:1], s[10:11], 3
	v_mul_hi_u32 v2, 0xcccccccd, v1
	s_add_u32 s0, s12, s0
	s_addc_u32 s1, s13, s1
	s_load_dwordx2 s[4:5], s[4:5], 0x20
	s_load_dwordx2 s[0:1], s[0:1], 0x0
	v_mul_hi_u32 v5, 0xba2e8bb, v0
	v_lshrrev_b32_e32 v2, 2, v2
	v_mul_u32_u24_e32 v5, 22, v5
	v_lshl_add_u32 v2, v2, 2, v2
	v_sub_nc_u32_e32 v20, v0, v5
	v_sub_nc_u32_e32 v1, v1, v2
	s_waitcnt lgkmcnt(0)
	v_cmp_gt_u64_e32 vcc_lo, s[4:5], v[9:10]
	v_mul_lo_u32 v6, s0, v10
	v_mul_lo_u32 v7, s1, v9
	v_mad_u64_u32 v[3:4], null, s0, v9, v[3:4]
	v_mul_u32_u24_e32 v2, 0xdd, v1
	v_add3_u32 v4, v7, v4, v6
	v_lshlrev_b64 v[22:23], 3, v[3:4]
	v_lshlrev_b32_e32 v4, 3, v2
	s_and_saveexec_b32 s1, vcc_lo
	s_cbranch_execz .LBB0_12
; %bb.9:
	v_mov_b32_e32 v21, 0
	v_add_co_u32 v0, s0, s2, v22
	v_add_co_ci_u32_e64 v1, s0, s3, v23, s0
	v_lshlrev_b64 v[5:6], 3, v[20:21]
	v_lshlrev_b32_e32 v3, 3, v20
	s_mov_b32 s4, exec_lo
	v_add3_u32 v3, 0, v4, v3
	v_add_co_u32 v5, s0, v0, v5
	v_add_co_ci_u32_e64 v6, s0, v1, v6, s0
	s_clause 0x9
	global_load_dwordx2 v[7:8], v[5:6], off
	global_load_dwordx2 v[9:10], v[5:6], off offset:176
	global_load_dwordx2 v[11:12], v[5:6], off offset:352
	;; [unrolled: 1-line block ×9, first 2 shown]
	s_waitcnt vmcnt(8)
	ds_write2_b64 v3, v[7:8], v[9:10] offset1:22
	s_waitcnt vmcnt(6)
	ds_write2_b64 v3, v[11:12], v[13:14] offset0:44 offset1:66
	s_waitcnt vmcnt(4)
	ds_write2_b64 v3, v[15:16], v[17:18] offset0:88 offset1:110
	;; [unrolled: 2-line block ×4, first 2 shown]
	v_cmpx_eq_u32_e32 21, v20
	s_cbranch_execz .LBB0_11
; %bb.10:
	global_load_dwordx2 v[0:1], v[0:1], off offset:1760
	v_mov_b32_e32 v20, 21
	s_waitcnt vmcnt(0)
	ds_write_b64 v3, v[0:1] offset:1592
.LBB0_11:
	s_or_b32 exec_lo, exec_lo, s4
.LBB0_12:
	s_or_b32 exec_lo, exec_lo, s1
	v_lshl_add_u32 v26, v2, 3, 0
	v_lshlrev_b32_e32 v6, 3, v20
	s_waitcnt lgkmcnt(0)
	s_barrier
	buffer_gl0_inv
	s_mov_b32 s1, exec_lo
	v_add_nc_u32_e32 v27, v26, v6
	v_sub_nc_u32_e32 v5, v26, v6
                                        ; implicit-def: $vgpr2_vgpr3
	ds_read_b32 v7, v27
	ds_read_b32 v8, v5 offset:1760
	s_waitcnt lgkmcnt(0)
	v_add_f32_e32 v0, v8, v7
	v_sub_f32_e32 v1, v7, v8
	v_cmpx_ne_u32_e32 0, v20
	s_xor_b32 s1, exec_lo, s1
	s_cbranch_execz .LBB0_14
; %bb.13:
	v_mov_b32_e32 v21, 0
	v_add_f32_e32 v9, v8, v7
	v_sub_f32_e32 v10, v7, v8
	v_lshlrev_b64 v[0:1], 3, v[20:21]
	v_add_co_u32 v0, s0, s8, v0
	v_add_co_ci_u32_e64 v1, s0, s9, v1, s0
	global_load_dwordx2 v[2:3], v[0:1], off offset:1680
	ds_read_b32 v0, v5 offset:1764
	ds_read_b32 v1, v27 offset:4
	s_waitcnt lgkmcnt(0)
	v_add_f32_e32 v11, v0, v1
	v_sub_f32_e32 v0, v1, v0
	s_waitcnt vmcnt(0)
	v_fma_f32 v7, -v10, v3, v9
	v_fma_f32 v8, v11, v3, -v0
	v_fma_f32 v12, v10, v3, v9
	v_fma_f32 v1, v11, v3, v0
	v_fmac_f32_e32 v7, v2, v11
	v_fmac_f32_e32 v8, v10, v2
	v_fma_f32 v0, -v2, v11, v12
	v_fmac_f32_e32 v1, v10, v2
	v_mov_b32_e32 v2, v20
	v_mov_b32_e32 v3, v21
	ds_write_b64 v5, v[7:8] offset:1760
.LBB0_14:
	s_andn2_saveexec_b32 s0, s1
	s_cbranch_execz .LBB0_16
; %bb.15:
	ds_read_b64 v[2:3], v26 offset:880
	s_waitcnt lgkmcnt(0)
	v_add_f32_e32 v7, v2, v2
	v_mul_f32_e32 v8, -2.0, v3
	v_mov_b32_e32 v2, 0
	v_mov_b32_e32 v3, 0
	ds_write_b64 v26, v[7:8] offset:880
.LBB0_16:
	s_or_b32 exec_lo, exec_lo, s0
	v_lshlrev_b64 v[2:3], 3, v[2:3]
	s_add_u32 s0, s8, 0x690
	s_addc_u32 s1, s9, 0
	v_add3_u32 v21, 0, v6, v4
	v_and_b32_e32 v6, 0xff, v20
	v_add_nc_u16 v24, v20, 22
	v_add_co_u32 v2, s0, s0, v2
	v_add_co_ci_u32_e64 v3, s0, s1, v3, s0
	v_add_nc_u16 v25, v20, 44
	v_add_nc_u16 v28, v20, 0x42
	v_mul_lo_u16 v6, 0xcd, v6
	s_clause 0x3
	global_load_dwordx2 v[7:8], v[2:3], off offset:176
	global_load_dwordx2 v[9:10], v[2:3], off offset:352
	;; [unrolled: 1-line block ×4, first 2 shown]
	ds_write_b64 v27, v[0:1]
	ds_read_b64 v[0:1], v27 offset:176
	ds_read_b64 v[13:14], v5 offset:1584
	v_add_nc_u16 v29, v20, 0x58
	v_lshrrev_b16 v31, 11, v6
	v_mov_b32_e32 v19, 3
	v_mad_u32_u24 v30, 0x48, v20, v21
	v_cmp_gt_u32_e64 s0, 20, v20
	v_mul_lo_u16 v33, v31, 10
	v_sub_nc_u16 v33, v20, v33
	v_lshlrev_b32_sdwa v33, v19, v33 dst_sel:DWORD dst_unused:UNUSED_PAD src0_sel:DWORD src1_sel:BYTE_0
	s_waitcnt lgkmcnt(0)
	v_add_f32_e32 v15, v0, v13
	v_add_f32_e32 v16, v14, v1
	v_sub_f32_e32 v17, v0, v13
	v_sub_f32_e32 v0, v1, v14
	s_waitcnt vmcnt(3)
	v_fma_f32 v18, v17, v8, v15
	v_fma_f32 v1, v16, v8, v0
	v_fma_f32 v13, -v17, v8, v15
	v_fma_f32 v14, v16, v8, -v0
	v_fma_f32 v0, -v7, v16, v18
	v_fmac_f32_e32 v1, v17, v7
	v_fmac_f32_e32 v13, v7, v16
	;; [unrolled: 1-line block ×3, first 2 shown]
	ds_write_b64 v27, v[0:1] offset:176
	ds_write_b64 v5, v[13:14] offset:1584
	ds_read_b64 v[0:1], v27 offset:352
	ds_read_b64 v[7:8], v5 offset:1408
	s_waitcnt lgkmcnt(0)
	v_add_f32_e32 v13, v0, v7
	v_add_f32_e32 v14, v8, v1
	v_sub_f32_e32 v15, v0, v7
	v_sub_f32_e32 v0, v1, v8
	s_waitcnt vmcnt(2)
	v_fma_f32 v16, v15, v10, v13
	v_fma_f32 v1, v14, v10, v0
	v_fma_f32 v7, -v15, v10, v13
	v_fma_f32 v8, v14, v10, -v0
	v_fma_f32 v0, -v9, v14, v16
	v_fmac_f32_e32 v1, v15, v9
	v_fmac_f32_e32 v7, v9, v14
	;; [unrolled: 1-line block ×3, first 2 shown]
	ds_write_b64 v27, v[0:1] offset:352
	ds_write_b64 v5, v[7:8] offset:1408
	ds_read_b64 v[0:1], v27 offset:528
	ds_read_b64 v[7:8], v5 offset:1232
	s_waitcnt lgkmcnt(0)
	v_add_f32_e32 v9, v0, v7
	v_add_f32_e32 v10, v8, v1
	v_sub_f32_e32 v13, v0, v7
	v_sub_f32_e32 v0, v1, v8
	s_waitcnt vmcnt(1)
	v_fma_f32 v14, v13, v12, v9
	v_fma_f32 v1, v10, v12, v0
	v_fma_f32 v7, -v13, v12, v9
	v_fma_f32 v8, v10, v12, -v0
	v_and_b32_e32 v9, 0xff, v24
	v_fma_f32 v0, -v11, v10, v14
	v_fmac_f32_e32 v1, v13, v11
	v_fmac_f32_e32 v7, v11, v10
	;; [unrolled: 1-line block ×3, first 2 shown]
	ds_write_b64 v27, v[0:1] offset:528
	ds_write_b64 v5, v[7:8] offset:1232
	ds_read_b64 v[0:1], v27 offset:704
	ds_read_b64 v[7:8], v5 offset:1056
	v_and_b32_e32 v10, 0xff, v25
	v_and_b32_e32 v11, 0xff, v28
	v_mul_lo_u16 v9, 0xcd, v9
	v_and_b32_e32 v12, 0xff, v29
	v_lshrrev_b16 v34, 11, v9
	v_mul_lo_u16 v32, 0xcd, v12
	v_mul_lo_u16 v37, v34, 10
	v_lshrrev_b16 v32, 11, v32
	v_sub_nc_u16 v24, v24, v37
	v_mul_lo_u16 v40, v32, 10
	s_waitcnt lgkmcnt(0)
	v_add_f32_e32 v6, v0, v7
	v_add_f32_e32 v13, v8, v1
	v_sub_f32_e32 v14, v0, v7
	v_sub_f32_e32 v0, v1, v8
	v_mul_lo_u16 v8, 0xcd, v10
	v_mul_lo_u16 v10, 0xcd, v11
	v_sub_nc_u16 v29, v29, v40
	s_waitcnt vmcnt(0)
	v_fma_f32 v11, v14, v3, v6
	v_fma_f32 v1, v13, v3, v0
	v_lshrrev_b16 v35, 11, v8
	v_lshrrev_b16 v36, 11, v10
	v_fma_f32 v6, -v14, v3, v6
	v_fma_f32 v7, v13, v3, -v0
	v_fma_f32 v0, -v2, v13, v11
	v_mul_lo_u16 v38, v35, 10
	v_fmac_f32_e32 v1, v14, v2
	v_mul_lo_u16 v39, v36, 10
	v_fmac_f32_e32 v6, v2, v13
	v_fmac_f32_e32 v7, v14, v2
	v_sub_nc_u16 v25, v25, v38
	ds_write_b64 v27, v[0:1] offset:704
	ds_write_b64 v5, v[6:7] offset:1056
	s_waitcnt lgkmcnt(0)
	s_barrier
	buffer_gl0_inv
	s_barrier
	buffer_gl0_inv
	ds_read2_b64 v[0:3], v21 offset0:22 offset1:44
	ds_read2_b64 v[5:8], v21 offset0:66 offset1:88
	ds_read_b64 v[17:18], v27
	ds_read2_b64 v[9:12], v21 offset0:110 offset1:132
	ds_read2_b64 v[13:16], v21 offset0:154 offset1:176
	v_sub_nc_u16 v28, v28, v39
	v_lshlrev_b32_sdwa v38, v19, v24 dst_sel:DWORD dst_unused:UNUSED_PAD src0_sel:DWORD src1_sel:BYTE_0
	v_lshlrev_b32_sdwa v39, v19, v25 dst_sel:DWORD dst_unused:UNUSED_PAD src0_sel:DWORD src1_sel:BYTE_0
	ds_read_b64 v[24:25], v21 offset:1584
	s_waitcnt lgkmcnt(0)
	v_lshlrev_b32_sdwa v28, v19, v28 dst_sel:DWORD dst_unused:UNUSED_PAD src0_sel:DWORD src1_sel:BYTE_0
	v_lshlrev_b32_sdwa v19, v19, v29 dst_sel:DWORD dst_unused:UNUSED_PAD src0_sel:DWORD src1_sel:BYTE_0
	s_barrier
	buffer_gl0_inv
	v_add_f32_e32 v53, v0, v5
	v_add_f32_e32 v37, v17, v2
	;; [unrolled: 1-line block ×5, first 2 shown]
	v_sub_f32_e32 v43, v2, v7
	v_sub_f32_e32 v44, v15, v11
	v_add_f32_e32 v56, v5, v24
	v_add_f32_e32 v58, v6, v25
	;; [unrolled: 1-line block ×4, first 2 shown]
	v_sub_f32_e32 v55, v6, v25
	v_sub_f32_e32 v59, v5, v9
	;; [unrolled: 1-line block ×5, first 2 shown]
	v_fma_f32 v54, -0.5, v54, v0
	v_fma_f32 v56, -0.5, v56, v0
	;; [unrolled: 1-line block ×3, first 2 shown]
	v_add_f32_e32 v0, v37, v7
	v_add_f32_e32 v9, v53, v9
	;; [unrolled: 1-line block ×3, first 2 shown]
	v_sub_f32_e32 v62, v6, v10
	v_sub_f32_e32 v6, v10, v6
	v_sub_f32_e32 v65, v10, v14
	v_fma_f32 v58, -0.5, v58, v1
	v_add_f32_e32 v10, v60, v10
	v_add_f32_e32 v40, v7, v11
	;; [unrolled: 1-line block ×3, first 2 shown]
	v_sub_f32_e32 v46, v7, v2
	v_sub_f32_e32 v47, v11, v15
	;; [unrolled: 1-line block ×9, first 2 shown]
	v_add_f32_e32 v7, v43, v44
	v_fma_f32 v43, -0.5, v49, v18
	v_fmac_f32_e32 v18, -0.5, v52
	v_add_f32_e32 v0, v0, v11
	v_add_f32_e32 v9, v9, v13
	v_fmamk_f32 v11, v55, 0xbf737871, v54
	v_fmamk_f32 v13, v5, 0x3f737871, v57
	v_sub_f32_e32 v70, v14, v25
	v_add_f32_e32 v1, v48, v8
	v_add_f32_e32 v10, v10, v14
	v_fmamk_f32 v14, v68, 0xbf737871, v58
	v_fmac_f32_e32 v58, 0x3f737871, v68
	v_fmac_f32_e32 v57, 0xbf737871, v5
	v_sub_f32_e32 v41, v3, v16
	v_sub_f32_e32 v42, v8, v12
	;; [unrolled: 1-line block ×3, first 2 shown]
	v_add_f32_e32 v8, v46, v47
	v_add_f32_e32 v37, v51, v63
	v_fma_f32 v40, -0.5, v40, v17
	v_add_f32_e32 v44, v59, v66
	v_add_f32_e32 v46, v62, v69
	v_fmamk_f32 v49, v2, 0x3f737871, v43
	v_fmac_f32_e32 v43, 0xbf737871, v2
	v_fmamk_f32 v51, v50, 0xbf737871, v18
	v_fmac_f32_e32 v18, 0x3f737871, v50
	v_fmac_f32_e32 v11, 0xbf167918, v65
	;; [unrolled: 1-line block ×3, first 2 shown]
	v_sub_f32_e32 v64, v12, v16
	v_fma_f32 v17, -0.5, v45, v17
	v_add_f32_e32 v6, v6, v70
	v_add_f32_e32 v1, v1, v12
	v_fmamk_f32 v12, v65, 0x3f737871, v56
	v_fmac_f32_e32 v56, 0xbf737871, v65
	v_fmac_f32_e32 v14, 0x3f167918, v5
	v_fmac_f32_e32 v58, 0xbf167918, v5
	v_fmac_f32_e32 v54, 0x3f737871, v55
	v_fmac_f32_e32 v57, 0xbf167918, v68
	v_fmamk_f32 v47, v41, 0xbf737871, v40
	v_add_f32_e32 v15, v0, v15
	v_fmac_f32_e32 v49, 0x3f167918, v50
	v_fmac_f32_e32 v43, 0xbf167918, v50
	;; [unrolled: 1-line block ×4, first 2 shown]
	v_add_f32_e32 v2, v9, v24
	v_fmac_f32_e32 v11, 0x3e9e377a, v44
	v_fmac_f32_e32 v13, 0x3e9e377a, v46
	v_add_f32_e32 v3, v3, v64
	v_add_f32_e32 v45, v61, v67
	v_fmac_f32_e32 v40, 0x3f737871, v41
	v_fmamk_f32 v48, v42, 0x3f737871, v17
	v_fmac_f32_e32 v17, 0xbf737871, v42
	v_add_f32_e32 v16, v1, v16
	v_fmac_f32_e32 v12, 0xbf167918, v55
	v_fmac_f32_e32 v56, 0x3f167918, v55
	v_add_f32_e32 v9, v10, v25
	v_fmac_f32_e32 v14, 0x3e9e377a, v6
	v_fmac_f32_e32 v58, 0x3e9e377a, v6
	;; [unrolled: 1-line block ×7, first 2 shown]
	v_add_f32_e32 v0, v15, v2
	v_sub_f32_e32 v2, v15, v2
	v_mul_f32_e32 v15, 0xbf167918, v13
	v_mul_f32_e32 v37, 0x3f167918, v11
	v_fmac_f32_e32 v40, 0x3f167918, v42
	v_fmac_f32_e32 v48, 0xbf167918, v41
	;; [unrolled: 1-line block ×7, first 2 shown]
	v_add_f32_e32 v1, v16, v9
	v_sub_f32_e32 v3, v16, v9
	v_mul_f32_e32 v16, 0xbf737871, v14
	v_mul_f32_e32 v24, 0xbf737871, v58
	;; [unrolled: 1-line block ×4, first 2 shown]
	v_fmac_f32_e32 v54, 0x3e9e377a, v44
	v_mul_f32_e32 v25, 0xbf167918, v57
	v_mul_f32_e32 v44, 0xbf4f1bbd, v57
	v_fmac_f32_e32 v47, 0x3e9e377a, v7
	v_fmac_f32_e32 v15, 0x3f4f1bbd, v11
	;; [unrolled: 1-line block ×12, first 2 shown]
	v_add_f32_e32 v5, v47, v15
	v_add_f32_e32 v6, v49, v37
	;; [unrolled: 1-line block ×8, first 2 shown]
	v_sub_f32_e32 v13, v47, v15
	v_sub_f32_e32 v15, v48, v16
	;; [unrolled: 1-line block ×8, first 2 shown]
	ds_write2_b64 v30, v[0:1], v[5:6] offset1:1
	ds_write2_b64 v30, v[7:8], v[9:10] offset0:2 offset1:3
	ds_write2_b64 v30, v[11:12], v[2:3] offset0:4 offset1:5
	;; [unrolled: 1-line block ×4, first 2 shown]
	s_waitcnt lgkmcnt(0)
	s_barrier
	buffer_gl0_inv
	s_clause 0x4
	global_load_dwordx2 v[9:10], v33, s[8:9]
	global_load_dwordx2 v[11:12], v38, s[8:9]
	;; [unrolled: 1-line block ×5, first 2 shown]
	v_and_b32_e32 v0, 0xffff, v31
	v_and_b32_e32 v5, 0xffff, v34
	;; [unrolled: 1-line block ×5, first 2 shown]
	v_mad_u32_u24 v29, 0xa0, v0, 0
	ds_read2_b64 v[0:3], v21 offset0:110 offset1:132
	v_mad_u32_u24 v31, 0xa0, v5, 0
	ds_read2_b64 v[5:8], v21 offset0:154 offset1:176
	v_mad_u32_u24 v32, 0xa0, v24, 0
	v_mad_u32_u24 v34, 0xa0, v25, 0
	ds_read_b64 v[24:25], v27
	ds_read_b64 v[36:37], v21 offset:1584
	v_mad_u32_u24 v30, 0xa0, v30, 0
	v_add3_u32 v40, v29, v33, v4
	v_add3_u32 v38, v31, v38, v4
	;; [unrolled: 1-line block ×5, first 2 shown]
	ds_read2_b64 v[28:31], v21 offset0:22 offset1:44
	ds_read2_b64 v[32:35], v21 offset0:66 offset1:88
	s_waitcnt vmcnt(0) lgkmcnt(0)
	s_barrier
	buffer_gl0_inv
	v_mul_f32_e32 v43, v14, v6
	v_mul_f32_e32 v4, v10, v1
	;; [unrolled: 1-line block ×10, first 2 shown]
	v_fmac_f32_e32 v4, v9, v0
	v_fma_f32 v0, v9, v1, -v10
	v_fmac_f32_e32 v42, v11, v2
	v_fma_f32 v1, v11, v3, -v12
	;; [unrolled: 2-line block ×5, first 2 shown]
	v_sub_f32_e32 v8, v24, v4
	v_sub_f32_e32 v9, v25, v0
	;; [unrolled: 1-line block ×10, first 2 shown]
	v_fma_f32 v24, v24, 2.0, -v8
	v_fma_f32 v25, v25, 2.0, -v9
	;; [unrolled: 1-line block ×10, first 2 shown]
	ds_write2_b64 v40, v[24:25], v[8:9] offset1:10
	ds_write2_b64 v38, v[10:11], v[0:1] offset1:10
	;; [unrolled: 1-line block ×5, first 2 shown]
	s_waitcnt lgkmcnt(0)
	s_barrier
	buffer_gl0_inv
	s_and_saveexec_b32 s1, s0
	s_cbranch_execz .LBB0_18
; %bb.17:
	ds_read_b64 v[24:25], v27
	ds_read2_b64 v[8:11], v21 offset0:20 offset1:40
	ds_read2_b64 v[0:3], v21 offset0:60 offset1:80
	ds_read2_b64 v[4:7], v21 offset0:100 offset1:120
	ds_read2_b64 v[12:15], v21 offset0:140 offset1:160
	ds_read2_b64 v[16:19], v21 offset0:180 offset1:200
.LBB0_18:
	s_or_b32 exec_lo, exec_lo, s1
	s_waitcnt lgkmcnt(0)
	s_barrier
	buffer_gl0_inv
	s_and_saveexec_b32 s1, s0
	s_cbranch_execz .LBB0_20
; %bb.19:
	v_subrev_nc_u32_e32 v28, 20, v20
	v_mov_b32_e32 v29, 0
	v_cndmask_b32_e64 v28, v28, v20, s0
	v_mul_i32_i24_e32 v28, 10, v28
	v_lshlrev_b64 v[28:29], 3, v[28:29]
	v_add_co_u32 v28, s0, s8, v28
	v_add_co_ci_u32_e64 v29, s0, s9, v29, s0
	s_clause 0x4
	global_load_dwordx4 v[38:41], v[28:29], off offset:144
	global_load_dwordx4 v[42:45], v[28:29], off offset:80
	;; [unrolled: 1-line block ×5, first 2 shown]
	s_waitcnt vmcnt(4)
	v_mul_f32_e32 v58, v18, v41
	s_waitcnt vmcnt(3)
	v_mul_f32_e32 v37, v8, v43
	v_mul_f32_e32 v43, v9, v43
	;; [unrolled: 1-line block ×7, first 2 shown]
	s_waitcnt vmcnt(2)
	v_mul_f32_e32 v39, v14, v49
	s_waitcnt vmcnt(1)
	v_mul_f32_e32 v45, v0, v51
	v_mul_f32_e32 v35, v1, v51
	;; [unrolled: 1-line block ×7, first 2 shown]
	s_waitcnt vmcnt(0)
	v_mul_f32_e32 v47, v6, v57
	v_mul_f32_e32 v53, v4, v55
	;; [unrolled: 1-line block ×3, first 2 shown]
	v_fma_f32 v55, v9, v42, -v37
	v_fmac_f32_e32 v43, v8, v42
	v_fma_f32 v8, v19, v40, -v58
	v_mul_f32_e32 v32, v7, v57
	v_fma_f32 v37, v11, v44, -v59
	v_fmac_f32_e32 v36, v10, v44
	v_fmac_f32_e32 v28, v18, v40
	v_fma_f32 v9, v17, v38, -v41
	v_fmac_f32_e32 v29, v16, v38
	v_fma_f32 v10, v15, v48, -v39
	v_fma_f32 v11, v1, v50, -v45
	v_fmac_f32_e32 v35, v0, v50
	v_fma_f32 v0, v13, v46, -v49
	v_fma_f32 v3, v3, v52, -v51
	v_fmac_f32_e32 v33, v2, v52
	v_fmac_f32_e32 v31, v12, v46
	v_fma_f32 v1, v7, v56, -v47
	v_fma_f32 v2, v5, v54, -v53
	v_add_f32_e32 v12, v55, v8
	v_sub_f32_e32 v15, v55, v8
	v_add_f32_e32 v16, v25, v55
	v_add_f32_e32 v17, v24, v43
	v_fmac_f32_e32 v30, v14, v48
	v_fmac_f32_e32 v34, v4, v54
	;; [unrolled: 1-line block ×3, first 2 shown]
	v_sub_f32_e32 v6, v43, v28
	v_add_f32_e32 v14, v37, v9
	v_add_f32_e32 v13, v11, v10
	;; [unrolled: 1-line block ×5, first 2 shown]
	v_sub_f32_e32 v40, v37, v9
	v_sub_f32_e32 v42, v11, v10
	;; [unrolled: 1-line block ×4, first 2 shown]
	v_mul_f32_e32 v48, 0xbf75a155, v12
	v_mul_f32_e32 v51, 0xbe903f40, v15
	;; [unrolled: 1-line block ×9, first 2 shown]
	v_add_f32_e32 v16, v16, v37
	v_add_f32_e32 v17, v17, v36
	v_sub_f32_e32 v5, v36, v29
	v_sub_f32_e32 v4, v35, v30
	;; [unrolled: 1-line block ×4, first 2 shown]
	v_add_f32_e32 v41, v36, v29
	v_add_f32_e32 v43, v35, v30
	v_add_f32_e32 v45, v33, v31
	v_add_f32_e32 v47, v34, v32
	v_mul_f32_e32 v49, 0x3f575c64, v14
	v_mul_f32_e32 v50, 0xbf27a4f4, v13
	;; [unrolled: 1-line block ×41, first 2 shown]
	v_fmamk_f32 v86, v6, 0x3e903f40, v48
	v_fmamk_f32 v88, v7, 0xbf75a155, v51
	;; [unrolled: 1-line block ×9, first 2 shown]
	v_add_f32_e32 v11, v16, v11
	v_add_f32_e32 v16, v17, v35
	v_fmamk_f32 v87, v5, 0xbf0a6770, v49
	v_fmamk_f32 v90, v5, 0xbf7d64f0, v53
	v_fmac_f32_e32 v48, 0xbe903f40, v6
	v_fmac_f32_e32 v52, 0xbf4178ce, v6
	;; [unrolled: 1-line block ×5, first 2 shown]
	v_fmamk_f32 v6, v7, 0x3f575c64, v15
	v_fma_f32 v51, 0xbf75a155, v7, -v51
	v_fma_f32 v55, 0xbf27a4f4, v7, -v55
	;; [unrolled: 1-line block ×5, first 2 shown]
	v_fmamk_f32 v15, v5, 0xbe903f40, v57
	v_fmamk_f32 v97, v5, 0x3f4178ce, v61
	;; [unrolled: 1-line block ×3, first 2 shown]
	v_fmac_f32_e32 v49, 0x3f0a6770, v5
	v_fmac_f32_e32 v53, 0x3f7d64f0, v5
	;; [unrolled: 1-line block ×5, first 2 shown]
	v_fmamk_f32 v5, v4, 0x3f4178ce, v50
	v_fmac_f32_e32 v50, 0xbf4178ce, v4
	v_fmamk_f32 v99, v4, 0x3f0a6770, v54
	v_fmac_f32_e32 v54, 0xbf0a6770, v4
	;; [unrolled: 2-line block ×15, first 2 shown]
	v_fmamk_f32 v39, v41, 0x3f575c64, v36
	v_fma_f32 v36, 0x3f575c64, v41, -v36
	v_fmamk_f32 v111, v41, 0xbe11bafb, v37
	v_fma_f32 v37, 0xbe11bafb, v41, -v37
	;; [unrolled: 2-line block ×20, first 2 shown]
	v_add_f32_e32 v47, v25, v86
	v_add_f32_e32 v86, v24, v88
	;; [unrolled: 1-line block ×114, first 2 shown]
	ds_write2_b64 v21, v[11:12], v[6:7] offset0:20 offset1:40
	ds_write2_b64 v21, v[4:5], v[2:3] offset0:60 offset1:80
	;; [unrolled: 1-line block ×4, first 2 shown]
	ds_write_b64 v27, v[28:29]
	ds_write2_b64 v21, v[9:10], v[24:25] offset0:180 offset1:200
.LBB0_20:
	s_or_b32 exec_lo, exec_lo, s1
	s_waitcnt lgkmcnt(0)
	s_barrier
	buffer_gl0_inv
	s_and_saveexec_b32 s0, vcc_lo
	s_cbranch_execz .LBB0_22
; %bb.21:
	v_lshl_add_u32 v24, v20, 3, v26
	v_mov_b32_e32 v21, 0
	v_add_nc_u32_e32 v8, 22, v20
	v_add_co_u32 v22, vcc_lo, s2, v22
	ds_read2_b64 v[0:3], v24 offset1:22
	v_mov_b32_e32 v9, v21
	v_lshlrev_b64 v[14:15], 3, v[20:21]
	v_add_nc_u32_e32 v10, 44, v20
	v_mov_b32_e32 v11, v21
	v_add_co_ci_u32_e32 v23, vcc_lo, s3, v23, vcc_lo
	v_lshlrev_b64 v[8:9], 3, v[8:9]
	v_add_nc_u32_e32 v12, 0x42, v20
	v_lshlrev_b64 v[16:17], 3, v[10:11]
	v_add_co_u32 v10, vcc_lo, v22, v14
	v_add_co_ci_u32_e32 v11, vcc_lo, v23, v15, vcc_lo
	v_mov_b32_e32 v13, v21
	ds_read2_b64 v[4:7], v24 offset0:44 offset1:66
	v_add_co_u32 v14, vcc_lo, v22, v8
	v_add_co_ci_u32_e32 v15, vcc_lo, v23, v9, vcc_lo
	s_waitcnt lgkmcnt(1)
	global_store_dwordx2 v[10:11], v[0:1], off
	ds_read2_b64 v[8:11], v24 offset0:88 offset1:110
	v_lshlrev_b64 v[0:1], 3, v[12:13]
	v_add_nc_u32_e32 v12, 0x58, v20
	v_add_co_u32 v16, vcc_lo, v22, v16
	v_add_co_ci_u32_e32 v17, vcc_lo, v23, v17, vcc_lo
	v_lshlrev_b64 v[12:13], 3, v[12:13]
	v_add_co_u32 v0, vcc_lo, v22, v0
	v_add_co_ci_u32_e32 v1, vcc_lo, v23, v1, vcc_lo
	v_add_nc_u32_e32 v18, 0x6e, v20
	v_mov_b32_e32 v19, v21
	v_add_co_u32 v12, vcc_lo, v22, v12
	v_add_co_ci_u32_e32 v13, vcc_lo, v23, v13, vcc_lo
	global_store_dwordx2 v[14:15], v[2:3], off
	s_waitcnt lgkmcnt(1)
	global_store_dwordx2 v[16:17], v[4:5], off
	global_store_dwordx2 v[0:1], v[6:7], off
	s_waitcnt lgkmcnt(0)
	global_store_dwordx2 v[12:13], v[8:9], off
	v_lshlrev_b64 v[0:1], 3, v[18:19]
	v_add_nc_u32_e32 v4, 0x84, v20
	v_mov_b32_e32 v5, v21
	v_add_nc_u32_e32 v6, 0x9a, v20
	v_mov_b32_e32 v7, v21
	v_add_nc_u32_e32 v16, 0xb0, v20
	v_add_co_u32 v8, vcc_lo, v22, v0
	v_add_co_ci_u32_e32 v9, vcc_lo, v23, v1, vcc_lo
	ds_read2_b64 v[0:3], v24 offset0:132 offset1:154
	v_lshlrev_b64 v[12:13], 3, v[4:5]
	v_lshlrev_b64 v[14:15], 3, v[6:7]
	v_mov_b32_e32 v17, v21
	ds_read2_b64 v[4:7], v24 offset0:176 offset1:198
	v_add_nc_u32_e32 v20, 0xc6, v20
	v_add_co_u32 v12, vcc_lo, v22, v12
	v_lshlrev_b64 v[16:17], 3, v[16:17]
	v_add_co_ci_u32_e32 v13, vcc_lo, v23, v13, vcc_lo
	v_add_co_u32 v14, vcc_lo, v22, v14
	v_lshlrev_b64 v[18:19], 3, v[20:21]
	v_add_co_ci_u32_e32 v15, vcc_lo, v23, v15, vcc_lo
	v_add_co_u32 v16, vcc_lo, v22, v16
	v_add_co_ci_u32_e32 v17, vcc_lo, v23, v17, vcc_lo
	v_add_co_u32 v18, vcc_lo, v22, v18
	v_add_co_ci_u32_e32 v19, vcc_lo, v23, v19, vcc_lo
	global_store_dwordx2 v[8:9], v[10:11], off
	s_waitcnt lgkmcnt(1)
	global_store_dwordx2 v[12:13], v[0:1], off
	global_store_dwordx2 v[14:15], v[2:3], off
	s_waitcnt lgkmcnt(0)
	global_store_dwordx2 v[16:17], v[4:5], off
	global_store_dwordx2 v[18:19], v[6:7], off
.LBB0_22:
	s_endpgm
	.section	.rodata,"a",@progbits
	.p2align	6, 0x0
	.amdhsa_kernel fft_rtc_back_len220_factors_10_2_11_wgs_110_tpt_22_sp_ip_CI_unitstride_sbrr_C2R_dirReg
		.amdhsa_group_segment_fixed_size 0
		.amdhsa_private_segment_fixed_size 0
		.amdhsa_kernarg_size 88
		.amdhsa_user_sgpr_count 6
		.amdhsa_user_sgpr_private_segment_buffer 1
		.amdhsa_user_sgpr_dispatch_ptr 0
		.amdhsa_user_sgpr_queue_ptr 0
		.amdhsa_user_sgpr_kernarg_segment_ptr 1
		.amdhsa_user_sgpr_dispatch_id 0
		.amdhsa_user_sgpr_flat_scratch_init 0
		.amdhsa_user_sgpr_private_segment_size 0
		.amdhsa_wavefront_size32 1
		.amdhsa_uses_dynamic_stack 0
		.amdhsa_system_sgpr_private_segment_wavefront_offset 0
		.amdhsa_system_sgpr_workgroup_id_x 1
		.amdhsa_system_sgpr_workgroup_id_y 0
		.amdhsa_system_sgpr_workgroup_id_z 0
		.amdhsa_system_sgpr_workgroup_info 0
		.amdhsa_system_vgpr_workitem_id 0
		.amdhsa_next_free_vgpr 125
		.amdhsa_next_free_sgpr 21
		.amdhsa_reserve_vcc 1
		.amdhsa_reserve_flat_scratch 0
		.amdhsa_float_round_mode_32 0
		.amdhsa_float_round_mode_16_64 0
		.amdhsa_float_denorm_mode_32 3
		.amdhsa_float_denorm_mode_16_64 3
		.amdhsa_dx10_clamp 1
		.amdhsa_ieee_mode 1
		.amdhsa_fp16_overflow 0
		.amdhsa_workgroup_processor_mode 1
		.amdhsa_memory_ordered 1
		.amdhsa_forward_progress 0
		.amdhsa_shared_vgpr_count 0
		.amdhsa_exception_fp_ieee_invalid_op 0
		.amdhsa_exception_fp_denorm_src 0
		.amdhsa_exception_fp_ieee_div_zero 0
		.amdhsa_exception_fp_ieee_overflow 0
		.amdhsa_exception_fp_ieee_underflow 0
		.amdhsa_exception_fp_ieee_inexact 0
		.amdhsa_exception_int_div_zero 0
	.end_amdhsa_kernel
	.text
.Lfunc_end0:
	.size	fft_rtc_back_len220_factors_10_2_11_wgs_110_tpt_22_sp_ip_CI_unitstride_sbrr_C2R_dirReg, .Lfunc_end0-fft_rtc_back_len220_factors_10_2_11_wgs_110_tpt_22_sp_ip_CI_unitstride_sbrr_C2R_dirReg
                                        ; -- End function
	.section	.AMDGPU.csdata,"",@progbits
; Kernel info:
; codeLenInByte = 6892
; NumSgprs: 23
; NumVgprs: 125
; ScratchSize: 0
; MemoryBound: 0
; FloatMode: 240
; IeeeMode: 1
; LDSByteSize: 0 bytes/workgroup (compile time only)
; SGPRBlocks: 2
; VGPRBlocks: 15
; NumSGPRsForWavesPerEU: 23
; NumVGPRsForWavesPerEU: 125
; Occupancy: 8
; WaveLimiterHint : 1
; COMPUTE_PGM_RSRC2:SCRATCH_EN: 0
; COMPUTE_PGM_RSRC2:USER_SGPR: 6
; COMPUTE_PGM_RSRC2:TRAP_HANDLER: 0
; COMPUTE_PGM_RSRC2:TGID_X_EN: 1
; COMPUTE_PGM_RSRC2:TGID_Y_EN: 0
; COMPUTE_PGM_RSRC2:TGID_Z_EN: 0
; COMPUTE_PGM_RSRC2:TIDIG_COMP_CNT: 0
	.text
	.p2alignl 6, 3214868480
	.fill 48, 4, 3214868480
	.type	__hip_cuid_7d0c18f3d4e17357,@object ; @__hip_cuid_7d0c18f3d4e17357
	.section	.bss,"aw",@nobits
	.globl	__hip_cuid_7d0c18f3d4e17357
__hip_cuid_7d0c18f3d4e17357:
	.byte	0                               ; 0x0
	.size	__hip_cuid_7d0c18f3d4e17357, 1

	.ident	"AMD clang version 19.0.0git (https://github.com/RadeonOpenCompute/llvm-project roc-6.4.0 25133 c7fe45cf4b819c5991fe208aaa96edf142730f1d)"
	.section	".note.GNU-stack","",@progbits
	.addrsig
	.addrsig_sym __hip_cuid_7d0c18f3d4e17357
	.amdgpu_metadata
---
amdhsa.kernels:
  - .args:
      - .actual_access:  read_only
        .address_space:  global
        .offset:         0
        .size:           8
        .value_kind:     global_buffer
      - .offset:         8
        .size:           8
        .value_kind:     by_value
      - .actual_access:  read_only
        .address_space:  global
        .offset:         16
        .size:           8
        .value_kind:     global_buffer
      - .actual_access:  read_only
        .address_space:  global
        .offset:         24
        .size:           8
        .value_kind:     global_buffer
      - .offset:         32
        .size:           8
        .value_kind:     by_value
      - .actual_access:  read_only
        .address_space:  global
        .offset:         40
        .size:           8
        .value_kind:     global_buffer
      - .actual_access:  read_only
        .address_space:  global
        .offset:         48
        .size:           8
        .value_kind:     global_buffer
      - .offset:         56
        .size:           4
        .value_kind:     by_value
      - .actual_access:  read_only
        .address_space:  global
        .offset:         64
        .size:           8
        .value_kind:     global_buffer
      - .actual_access:  read_only
        .address_space:  global
        .offset:         72
        .size:           8
        .value_kind:     global_buffer
      - .address_space:  global
        .offset:         80
        .size:           8
        .value_kind:     global_buffer
    .group_segment_fixed_size: 0
    .kernarg_segment_align: 8
    .kernarg_segment_size: 88
    .language:       OpenCL C
    .language_version:
      - 2
      - 0
    .max_flat_workgroup_size: 110
    .name:           fft_rtc_back_len220_factors_10_2_11_wgs_110_tpt_22_sp_ip_CI_unitstride_sbrr_C2R_dirReg
    .private_segment_fixed_size: 0
    .sgpr_count:     23
    .sgpr_spill_count: 0
    .symbol:         fft_rtc_back_len220_factors_10_2_11_wgs_110_tpt_22_sp_ip_CI_unitstride_sbrr_C2R_dirReg.kd
    .uniform_work_group_size: 1
    .uses_dynamic_stack: false
    .vgpr_count:     125
    .vgpr_spill_count: 0
    .wavefront_size: 32
    .workgroup_processor_mode: 1
amdhsa.target:   amdgcn-amd-amdhsa--gfx1030
amdhsa.version:
  - 1
  - 2
...

	.end_amdgpu_metadata
